;; amdgpu-corpus repo=ROCm/rocFFT kind=compiled arch=gfx906 opt=O3
	.text
	.amdgcn_target "amdgcn-amd-amdhsa--gfx906"
	.amdhsa_code_object_version 6
	.protected	fft_rtc_back_len1500_factors_5_10_10_3_wgs_150_tpt_150_halfLds_dp_ip_CI_unitstride_sbrr_R2C_dirReg ; -- Begin function fft_rtc_back_len1500_factors_5_10_10_3_wgs_150_tpt_150_halfLds_dp_ip_CI_unitstride_sbrr_R2C_dirReg
	.globl	fft_rtc_back_len1500_factors_5_10_10_3_wgs_150_tpt_150_halfLds_dp_ip_CI_unitstride_sbrr_R2C_dirReg
	.p2align	8
	.type	fft_rtc_back_len1500_factors_5_10_10_3_wgs_150_tpt_150_halfLds_dp_ip_CI_unitstride_sbrr_R2C_dirReg,@function
fft_rtc_back_len1500_factors_5_10_10_3_wgs_150_tpt_150_halfLds_dp_ip_CI_unitstride_sbrr_R2C_dirReg: ; @fft_rtc_back_len1500_factors_5_10_10_3_wgs_150_tpt_150_halfLds_dp_ip_CI_unitstride_sbrr_R2C_dirReg
; %bb.0:
	s_load_dwordx2 s[12:13], s[4:5], 0x50
	s_load_dwordx4 s[8:11], s[4:5], 0x0
	s_load_dwordx2 s[2:3], s[4:5], 0x18
	v_mul_u32_u24_e32 v1, 0x1b5, v0
	v_add_u32_sdwa v5, s6, v1 dst_sel:DWORD dst_unused:UNUSED_PAD src0_sel:DWORD src1_sel:WORD_1
	v_mov_b32_e32 v3, 0
	s_waitcnt lgkmcnt(0)
	v_cmp_lt_u64_e64 s[0:1], s[10:11], 2
	v_mov_b32_e32 v1, 0
	v_mov_b32_e32 v6, v3
	s_and_b64 vcc, exec, s[0:1]
	v_mov_b32_e32 v2, 0
	s_cbranch_vccnz .LBB0_8
; %bb.1:
	s_load_dwordx2 s[0:1], s[4:5], 0x10
	s_add_u32 s6, s2, 8
	s_addc_u32 s7, s3, 0
	v_mov_b32_e32 v1, 0
	v_mov_b32_e32 v2, 0
	s_waitcnt lgkmcnt(0)
	s_add_u32 s14, s0, 8
	s_addc_u32 s15, s1, 0
	s_mov_b64 s[16:17], 1
.LBB0_2:                                ; =>This Inner Loop Header: Depth=1
	s_load_dwordx2 s[18:19], s[14:15], 0x0
                                        ; implicit-def: $vgpr7_vgpr8
	s_waitcnt lgkmcnt(0)
	v_or_b32_e32 v4, s19, v6
	v_cmp_ne_u64_e32 vcc, 0, v[3:4]
	s_and_saveexec_b64 s[0:1], vcc
	s_xor_b64 s[20:21], exec, s[0:1]
	s_cbranch_execz .LBB0_4
; %bb.3:                                ;   in Loop: Header=BB0_2 Depth=1
	v_cvt_f32_u32_e32 v4, s18
	v_cvt_f32_u32_e32 v7, s19
	s_sub_u32 s0, 0, s18
	s_subb_u32 s1, 0, s19
	v_mac_f32_e32 v4, 0x4f800000, v7
	v_rcp_f32_e32 v4, v4
	v_mul_f32_e32 v4, 0x5f7ffffc, v4
	v_mul_f32_e32 v7, 0x2f800000, v4
	v_trunc_f32_e32 v7, v7
	v_mac_f32_e32 v4, 0xcf800000, v7
	v_cvt_u32_f32_e32 v7, v7
	v_cvt_u32_f32_e32 v4, v4
	v_mul_lo_u32 v8, s0, v7
	v_mul_hi_u32 v9, s0, v4
	v_mul_lo_u32 v11, s1, v4
	v_mul_lo_u32 v10, s0, v4
	v_add_u32_e32 v8, v9, v8
	v_add_u32_e32 v8, v8, v11
	v_mul_hi_u32 v9, v4, v10
	v_mul_lo_u32 v11, v4, v8
	v_mul_hi_u32 v13, v4, v8
	v_mul_hi_u32 v12, v7, v10
	v_mul_lo_u32 v10, v7, v10
	v_mul_hi_u32 v14, v7, v8
	v_add_co_u32_e32 v9, vcc, v9, v11
	v_addc_co_u32_e32 v11, vcc, 0, v13, vcc
	v_mul_lo_u32 v8, v7, v8
	v_add_co_u32_e32 v9, vcc, v9, v10
	v_addc_co_u32_e32 v9, vcc, v11, v12, vcc
	v_addc_co_u32_e32 v10, vcc, 0, v14, vcc
	v_add_co_u32_e32 v8, vcc, v9, v8
	v_addc_co_u32_e32 v9, vcc, 0, v10, vcc
	v_add_co_u32_e32 v4, vcc, v4, v8
	v_addc_co_u32_e32 v7, vcc, v7, v9, vcc
	v_mul_lo_u32 v8, s0, v7
	v_mul_hi_u32 v9, s0, v4
	v_mul_lo_u32 v10, s1, v4
	v_mul_lo_u32 v11, s0, v4
	v_add_u32_e32 v8, v9, v8
	v_add_u32_e32 v8, v8, v10
	v_mul_lo_u32 v12, v4, v8
	v_mul_hi_u32 v13, v4, v11
	v_mul_hi_u32 v14, v4, v8
	;; [unrolled: 1-line block ×3, first 2 shown]
	v_mul_lo_u32 v11, v7, v11
	v_mul_hi_u32 v9, v7, v8
	v_add_co_u32_e32 v12, vcc, v13, v12
	v_addc_co_u32_e32 v13, vcc, 0, v14, vcc
	v_mul_lo_u32 v8, v7, v8
	v_add_co_u32_e32 v11, vcc, v12, v11
	v_addc_co_u32_e32 v10, vcc, v13, v10, vcc
	v_addc_co_u32_e32 v9, vcc, 0, v9, vcc
	v_add_co_u32_e32 v8, vcc, v10, v8
	v_addc_co_u32_e32 v9, vcc, 0, v9, vcc
	v_add_co_u32_e32 v4, vcc, v4, v8
	v_addc_co_u32_e32 v9, vcc, v7, v9, vcc
	v_mad_u64_u32 v[7:8], s[0:1], v5, v9, 0
	v_mul_hi_u32 v10, v5, v4
	v_add_co_u32_e32 v11, vcc, v10, v7
	v_addc_co_u32_e32 v12, vcc, 0, v8, vcc
	v_mad_u64_u32 v[7:8], s[0:1], v6, v4, 0
	v_mad_u64_u32 v[9:10], s[0:1], v6, v9, 0
	v_add_co_u32_e32 v4, vcc, v11, v7
	v_addc_co_u32_e32 v4, vcc, v12, v8, vcc
	v_addc_co_u32_e32 v7, vcc, 0, v10, vcc
	v_add_co_u32_e32 v4, vcc, v4, v9
	v_addc_co_u32_e32 v9, vcc, 0, v7, vcc
	v_mul_lo_u32 v10, s19, v4
	v_mul_lo_u32 v11, s18, v9
	v_mad_u64_u32 v[7:8], s[0:1], s18, v4, 0
	v_add3_u32 v8, v8, v11, v10
	v_sub_u32_e32 v10, v6, v8
	v_mov_b32_e32 v11, s19
	v_sub_co_u32_e32 v7, vcc, v5, v7
	v_subb_co_u32_e64 v10, s[0:1], v10, v11, vcc
	v_subrev_co_u32_e64 v11, s[0:1], s18, v7
	v_subbrev_co_u32_e64 v10, s[0:1], 0, v10, s[0:1]
	v_cmp_le_u32_e64 s[0:1], s19, v10
	v_cndmask_b32_e64 v12, 0, -1, s[0:1]
	v_cmp_le_u32_e64 s[0:1], s18, v11
	v_cndmask_b32_e64 v11, 0, -1, s[0:1]
	v_cmp_eq_u32_e64 s[0:1], s19, v10
	v_cndmask_b32_e64 v10, v12, v11, s[0:1]
	v_add_co_u32_e64 v11, s[0:1], 2, v4
	v_addc_co_u32_e64 v12, s[0:1], 0, v9, s[0:1]
	v_add_co_u32_e64 v13, s[0:1], 1, v4
	v_addc_co_u32_e64 v14, s[0:1], 0, v9, s[0:1]
	v_subb_co_u32_e32 v8, vcc, v6, v8, vcc
	v_cmp_ne_u32_e64 s[0:1], 0, v10
	v_cmp_le_u32_e32 vcc, s19, v8
	v_cndmask_b32_e64 v10, v14, v12, s[0:1]
	v_cndmask_b32_e64 v12, 0, -1, vcc
	v_cmp_le_u32_e32 vcc, s18, v7
	v_cndmask_b32_e64 v7, 0, -1, vcc
	v_cmp_eq_u32_e32 vcc, s19, v8
	v_cndmask_b32_e32 v7, v12, v7, vcc
	v_cmp_ne_u32_e32 vcc, 0, v7
	v_cndmask_b32_e64 v7, v13, v11, s[0:1]
	v_cndmask_b32_e32 v8, v9, v10, vcc
	v_cndmask_b32_e32 v7, v4, v7, vcc
.LBB0_4:                                ;   in Loop: Header=BB0_2 Depth=1
	s_andn2_saveexec_b64 s[0:1], s[20:21]
	s_cbranch_execz .LBB0_6
; %bb.5:                                ;   in Loop: Header=BB0_2 Depth=1
	v_cvt_f32_u32_e32 v4, s18
	s_sub_i32 s20, 0, s18
	v_rcp_iflag_f32_e32 v4, v4
	v_mul_f32_e32 v4, 0x4f7ffffe, v4
	v_cvt_u32_f32_e32 v4, v4
	v_mul_lo_u32 v7, s20, v4
	v_mul_hi_u32 v7, v4, v7
	v_add_u32_e32 v4, v4, v7
	v_mul_hi_u32 v4, v5, v4
	v_mul_lo_u32 v7, v4, s18
	v_add_u32_e32 v8, 1, v4
	v_sub_u32_e32 v7, v5, v7
	v_subrev_u32_e32 v9, s18, v7
	v_cmp_le_u32_e32 vcc, s18, v7
	v_cndmask_b32_e32 v7, v7, v9, vcc
	v_cndmask_b32_e32 v4, v4, v8, vcc
	v_add_u32_e32 v8, 1, v4
	v_cmp_le_u32_e32 vcc, s18, v7
	v_cndmask_b32_e32 v7, v4, v8, vcc
	v_mov_b32_e32 v8, v3
.LBB0_6:                                ;   in Loop: Header=BB0_2 Depth=1
	s_or_b64 exec, exec, s[0:1]
	v_mul_lo_u32 v4, v8, s18
	v_mul_lo_u32 v11, v7, s19
	v_mad_u64_u32 v[9:10], s[0:1], v7, s18, 0
	s_load_dwordx2 s[0:1], s[6:7], 0x0
	s_add_u32 s16, s16, 1
	v_add3_u32 v4, v10, v11, v4
	v_sub_co_u32_e32 v5, vcc, v5, v9
	v_subb_co_u32_e32 v4, vcc, v6, v4, vcc
	s_waitcnt lgkmcnt(0)
	v_mul_lo_u32 v4, s0, v4
	v_mul_lo_u32 v6, s1, v5
	v_mad_u64_u32 v[1:2], s[0:1], s0, v5, v[1:2]
	s_addc_u32 s17, s17, 0
	s_add_u32 s6, s6, 8
	v_add3_u32 v2, v6, v2, v4
	v_mov_b32_e32 v4, s10
	v_mov_b32_e32 v5, s11
	s_addc_u32 s7, s7, 0
	v_cmp_ge_u64_e32 vcc, s[16:17], v[4:5]
	s_add_u32 s14, s14, 8
	s_addc_u32 s15, s15, 0
	s_cbranch_vccnz .LBB0_9
; %bb.7:                                ;   in Loop: Header=BB0_2 Depth=1
	v_mov_b32_e32 v5, v7
	v_mov_b32_e32 v6, v8
	s_branch .LBB0_2
.LBB0_8:
	v_mov_b32_e32 v8, v6
	v_mov_b32_e32 v7, v5
.LBB0_9:
	s_lshl_b64 s[0:1], s[10:11], 3
	s_add_u32 s0, s2, s0
	s_addc_u32 s1, s3, s1
	s_load_dwordx2 s[2:3], s[0:1], 0x0
	s_load_dwordx2 s[6:7], s[4:5], 0x20
                                        ; implicit-def: $vgpr52
                                        ; implicit-def: $vgpr55
                                        ; implicit-def: $vgpr54
	s_waitcnt lgkmcnt(0)
	v_mad_u64_u32 v[1:2], s[0:1], s2, v7, v[1:2]
	s_mov_b32 s0, 0x1b4e81c
	v_mul_lo_u32 v3, s2, v8
	v_mul_lo_u32 v4, s3, v7
	v_mul_hi_u32 v5, v0, s0
	v_cmp_gt_u64_e64 s[0:1], s[6:7], v[7:8]
	v_cmp_le_u64_e32 vcc, s[6:7], v[7:8]
	v_add3_u32 v2, v4, v2, v3
	v_mul_u32_u24_e32 v3, 0x96, v5
	v_sub_u32_e32 v48, v0, v3
	s_and_saveexec_b64 s[2:3], vcc
	s_xor_b64 s[2:3], exec, s[2:3]
; %bb.10:
	v_add_u32_e32 v52, 0x96, v48
	v_add_u32_e32 v55, 0x12c, v48
	;; [unrolled: 1-line block ×3, first 2 shown]
; %bb.11:
	s_or_saveexec_b64 s[2:3], s[2:3]
	v_lshlrev_b64 v[50:51], 4, v[1:2]
	v_lshl_add_u32 v58, v48, 4, 0
	s_xor_b64 exec, exec, s[2:3]
	s_cbranch_execz .LBB0_13
; %bb.12:
	v_mov_b32_e32 v49, 0
	v_mov_b32_e32 v0, s13
	v_add_co_u32_e32 v2, vcc, s12, v50
	v_addc_co_u32_e32 v3, vcc, v0, v51, vcc
	v_lshlrev_b64 v[0:1], 4, v[48:49]
	s_movk_i32 s4, 0x1000
	v_add_co_u32_e32 v31, vcc, v2, v0
	v_addc_co_u32_e32 v32, vcc, v3, v1, vcc
	v_add_co_u32_e32 v16, vcc, s4, v31
	v_addc_co_u32_e32 v17, vcc, 0, v32, vcc
	s_movk_i32 s4, 0x2000
	v_add_co_u32_e32 v24, vcc, s4, v31
	v_addc_co_u32_e32 v25, vcc, 0, v32, vcc
	s_movk_i32 s4, 0x3000
	v_add_co_u32_e32 v33, vcc, s4, v31
	v_addc_co_u32_e32 v34, vcc, 0, v32, vcc
	v_add_co_u32_e32 v40, vcc, 0x4000, v31
	v_addc_co_u32_e32 v41, vcc, 0, v32, vcc
	v_add_co_u32_e32 v42, vcc, 0x5000, v31
	global_load_dwordx4 v[0:3], v[31:32], off
	global_load_dwordx4 v[4:7], v[31:32], off offset:2400
	global_load_dwordx4 v[8:11], v[16:17], off offset:704
	;; [unrolled: 1-line block ×3, first 2 shown]
	s_nop 0
	global_load_dwordx4 v[16:19], v[24:25], off offset:1408
	global_load_dwordx4 v[20:23], v[24:25], off offset:3808
	s_nop 0
	global_load_dwordx4 v[24:27], v[33:34], off offset:2112
	global_load_dwordx4 v[28:31], v[40:41], off offset:416
	v_addc_co_u32_e32 v43, vcc, 0, v32, vcc
	global_load_dwordx4 v[32:35], v[40:41], off offset:2816
	global_load_dwordx4 v[36:39], v[42:43], off offset:1120
	v_add_u32_e32 v52, 0x96, v48
	v_add_u32_e32 v55, 0x12c, v48
	;; [unrolled: 1-line block ×3, first 2 shown]
	s_waitcnt vmcnt(9)
	ds_write_b128 v58, v[0:3]
	s_waitcnt vmcnt(8)
	ds_write_b128 v58, v[4:7] offset:2400
	s_waitcnt vmcnt(7)
	ds_write_b128 v58, v[8:11] offset:4800
	;; [unrolled: 2-line block ×9, first 2 shown]
.LBB0_13:
	s_or_b64 exec, exec, s[2:3]
	s_waitcnt lgkmcnt(0)
	s_barrier
	ds_read_b128 v[24:27], v58 offset:4800
	ds_read_b128 v[28:31], v58 offset:9600
	ds_read_b128 v[0:3], v58
	ds_read_b128 v[32:35], v58 offset:14400
	ds_read_b128 v[20:23], v58 offset:2400
	ds_read_b128 v[8:11], v58 offset:7200
	ds_read_b128 v[12:15], v58 offset:12000
	s_waitcnt lgkmcnt(4)
	v_add_f64 v[40:41], v[0:1], v[24:25]
	s_waitcnt lgkmcnt(3)
	v_add_f64 v[42:43], v[28:29], v[32:33]
	ds_read_b128 v[16:19], v58 offset:16800
	ds_read_b128 v[36:39], v58 offset:19200
	;; [unrolled: 1-line block ×3, first 2 shown]
	s_mov_b32 s10, 0x134454ff
	s_mov_b32 s11, 0xbfee6f0e
	v_add_f64 v[59:60], v[30:31], -v[34:35]
	s_waitcnt lgkmcnt(1)
	v_add_f64 v[44:45], v[26:27], -v[38:39]
	v_add_f64 v[40:41], v[40:41], v[28:29]
	v_fma_f64 v[42:43], v[42:43], -0.5, v[0:1]
	v_add_f64 v[46:47], v[24:25], v[36:37]
	v_add_f64 v[61:62], v[24:25], -v[28:29]
	v_add_f64 v[63:64], v[36:37], -v[32:33]
	s_mov_b32 s14, 0x4755a5e
	s_mov_b32 s15, 0xbfe2cf23
	;; [unrolled: 1-line block ×3, first 2 shown]
	v_add_f64 v[40:41], v[40:41], v[32:33]
	v_fma_f64 v[56:57], v[44:45], s[10:11], v[42:43]
	v_fma_f64 v[46:47], v[46:47], -0.5, v[0:1]
	s_mov_b32 s2, s10
	v_fma_f64 v[42:43], v[44:45], s[2:3], v[42:43]
	v_add_f64 v[65:66], v[32:33], -v[36:37]
	s_mov_b32 s5, 0x3fe2cf23
	v_add_f64 v[67:68], v[30:31], v[34:35]
	v_add_f64 v[0:1], v[40:41], v[36:37]
	v_fma_f64 v[40:41], v[59:60], s[14:15], v[56:57]
	v_add_f64 v[56:57], v[61:62], v[63:64]
	v_fma_f64 v[61:62], v[59:60], s[2:3], v[46:47]
	v_fma_f64 v[46:47], v[59:60], s[10:11], v[46:47]
	v_add_f64 v[63:64], v[28:29], -v[24:25]
	s_mov_b32 s4, s14
	v_fma_f64 v[42:43], v[59:60], s[4:5], v[42:43]
	v_add_f64 v[32:33], v[28:29], -v[32:33]
	s_mov_b32 s6, 0x372fe950
	s_mov_b32 s7, 0x3fd3c6ef
	v_fma_f64 v[59:60], v[44:45], s[14:15], v[61:62]
	v_fma_f64 v[44:45], v[44:45], s[4:5], v[46:47]
	v_add_f64 v[46:47], v[26:27], v[38:39]
	v_add_f64 v[61:62], v[63:64], v[65:66]
	v_add_f64 v[63:64], v[2:3], v[26:27]
	v_fma_f64 v[65:66], v[67:68], -0.5, v[2:3]
	v_add_f64 v[67:68], v[24:25], -v[36:37]
	v_fma_f64 v[24:25], v[56:57], s[6:7], v[40:41]
	v_fma_f64 v[36:37], v[56:57], s[6:7], v[42:43]
	s_waitcnt lgkmcnt(0)
	v_add_f64 v[69:70], v[10:11], v[6:7]
	v_fma_f64 v[2:3], v[46:47], -0.5, v[2:3]
	v_fma_f64 v[28:29], v[61:62], s[6:7], v[44:45]
	v_add_f64 v[42:43], v[63:64], v[30:31]
	v_add_f64 v[46:47], v[26:27], -v[30:31]
	v_fma_f64 v[44:45], v[67:68], s[2:3], v[65:66]
	v_add_f64 v[26:27], v[30:31], -v[26:27]
	v_add_f64 v[30:31], v[38:39], -v[34:35]
	v_fma_f64 v[56:57], v[67:68], s[10:11], v[65:66]
	v_fma_f64 v[40:41], v[61:62], s[6:7], v[59:60]
	;; [unrolled: 1-line block ×3, first 2 shown]
	v_add_f64 v[61:62], v[20:21], v[8:9]
	v_add_f64 v[42:43], v[42:43], v[34:35]
	v_add_f64 v[34:35], v[34:35], -v[38:39]
	v_fma_f64 v[44:45], v[32:33], s[4:5], v[44:45]
	v_add_f64 v[30:31], v[46:47], v[30:31]
	v_fma_f64 v[46:47], v[32:33], s[14:15], v[56:57]
	v_fma_f64 v[32:33], v[32:33], s[2:3], v[2:3]
	v_add_f64 v[63:64], v[12:13], v[16:17]
	v_fma_f64 v[56:57], v[67:68], s[4:5], v[59:60]
	v_add_f64 v[59:60], v[61:62], v[12:13]
	v_add_f64 v[34:35], v[26:27], v[34:35]
	;; [unrolled: 1-line block ×3, first 2 shown]
	v_fma_f64 v[26:27], v[30:31], s[6:7], v[44:45]
	v_fma_f64 v[38:39], v[30:31], s[6:7], v[46:47]
	;; [unrolled: 1-line block ×3, first 2 shown]
	v_fma_f64 v[61:62], v[63:64], -0.5, v[20:21]
	v_add_f64 v[63:64], v[10:11], -v[6:7]
	v_add_f64 v[32:33], v[8:9], v[4:5]
	v_add_f64 v[44:45], v[59:60], v[16:17]
	v_fma_f64 v[42:43], v[34:35], s[6:7], v[56:57]
	v_add_f64 v[67:68], v[16:17], -v[4:5]
	v_add_f64 v[56:57], v[14:15], -v[18:19]
	v_fma_f64 v[30:31], v[34:35], s[6:7], v[30:31]
	v_add_f64 v[34:35], v[12:13], -v[8:9]
	v_fma_f64 v[46:47], v[63:64], s[10:11], v[61:62]
	v_add_f64 v[59:60], v[8:9], -v[12:13]
	v_add_f64 v[65:66], v[4:5], -v[16:17]
	v_fma_f64 v[32:33], v[32:33], -0.5, v[20:21]
	v_add_f64 v[20:21], v[44:45], v[4:5]
	v_add_f64 v[44:45], v[14:15], v[18:19]
	v_fma_f64 v[61:62], v[63:64], s[2:3], v[61:62]
	v_add_f64 v[34:35], v[34:35], v[67:68]
	v_add_f64 v[67:68], v[22:23], v[10:11]
	v_fma_f64 v[46:47], v[56:57], s[14:15], v[46:47]
	v_add_f64 v[59:60], v[59:60], v[65:66]
	v_fma_f64 v[65:66], v[56:57], s[2:3], v[32:33]
	v_add_f64 v[8:9], v[8:9], -v[4:5]
	v_fma_f64 v[44:45], v[44:45], -0.5, v[22:23]
	v_fma_f64 v[22:23], v[69:70], -0.5, v[22:23]
	v_add_f64 v[12:13], v[12:13], -v[16:17]
	v_fma_f64 v[16:17], v[56:57], s[10:11], v[32:33]
	v_add_f64 v[32:33], v[67:68], v[14:15]
	v_fma_f64 v[4:5], v[59:60], s[6:7], v[46:47]
	v_fma_f64 v[46:47], v[56:57], s[4:5], v[61:62]
	;; [unrolled: 1-line block ×4, first 2 shown]
	v_add_f64 v[65:66], v[10:11], -v[14:15]
	v_add_f64 v[10:11], v[14:15], -v[10:11]
	v_add_f64 v[14:15], v[6:7], -v[18:19]
	v_fma_f64 v[44:45], v[8:9], s[10:11], v[44:45]
	v_fma_f64 v[67:68], v[12:13], s[10:11], v[22:23]
	v_add_f64 v[69:70], v[18:19], -v[6:7]
	v_fma_f64 v[22:23], v[12:13], s[2:3], v[22:23]
	v_add_f64 v[18:19], v[32:33], v[18:19]
	v_fma_f64 v[32:33], v[12:13], s[4:5], v[56:57]
	v_fma_f64 v[16:17], v[63:64], s[4:5], v[16:17]
	v_add_f64 v[14:15], v[65:66], v[14:15]
	v_fma_f64 v[44:45], v[12:13], s[14:15], v[44:45]
	;; [unrolled: 3-line block ×3, first 2 shown]
	v_add_f64 v[22:23], v[18:19], v[6:7]
	v_fma_f64 v[12:13], v[34:35], s[6:7], v[61:62]
	v_fma_f64 v[16:17], v[34:35], s[6:7], v[16:17]
	;; [unrolled: 1-line block ×4, first 2 shown]
	s_movk_i32 s16, 0x50
	v_fma_f64 v[14:15], v[63:64], s[6:7], v[56:57]
	v_fma_f64 v[18:19], v[63:64], s[6:7], v[65:66]
	;; [unrolled: 1-line block ×3, first 2 shown]
	v_lshl_add_u32 v32, v48, 6, v58
	v_mad_i32_i24 v49, v52, s16, 0
	s_movk_i32 s16, 0xcd
	s_barrier
	ds_write_b128 v32, v[0:3]
	ds_write_b128 v32, v[24:27] offset:16
	ds_write_b128 v32, v[40:43] offset:32
	;; [unrolled: 1-line block ×4, first 2 shown]
	v_mul_lo_u16_sdwa v0, v48, s16 dst_sel:DWORD dst_unused:UNUSED_PAD src0_sel:BYTE_0 src1_sel:DWORD
	v_lshrrev_b16_e32 v3, 10, v0
	v_mul_lo_u16_e32 v0, 5, v3
	ds_write_b128 v49, v[20:23]
	ds_write_b128 v49, v[4:7] offset:16
	ds_write_b128 v49, v[12:15] offset:32
	;; [unrolled: 1-line block ×4, first 2 shown]
	v_sub_u16_e32 v4, v48, v0
	v_mov_b32_e32 v2, 9
	v_mul_u32_u24_sdwa v0, v4, v2 dst_sel:DWORD dst_unused:UNUSED_PAD src0_sel:BYTE_0 src1_sel:DWORD
	v_lshlrev_b32_e32 v0, 4, v0
	s_waitcnt lgkmcnt(0)
	s_barrier
	global_load_dwordx4 v[8:11], v0, s[8:9]
	global_load_dwordx4 v[12:15], v0, s[8:9] offset:16
	global_load_dwordx4 v[16:19], v0, s[8:9] offset:32
	;; [unrolled: 1-line block ×8, first 2 shown]
	v_lshlrev_b32_e32 v6, 6, v52
	v_sub_u32_e32 v7, v49, v6
	ds_read_b128 v[44:47], v7
	ds_read_b128 v[69:72], v58 offset:9600
	v_lshl_add_u32 v60, v55, 4, 0
	ds_read_b128 v[61:64], v60
	v_lshl_add_u32 v59, v54, 4, 0
	ds_read_b128 v[65:68], v59
	s_mov_b32 s18, 0x9b97f4a8
	s_mov_b32 s19, 0x3fe9e377
	;; [unrolled: 1-line block ×6, first 2 shown]
	v_sub_u32_e32 v53, 0, v6
	v_cmp_gt_u32_e32 vcc, 50, v48
	s_waitcnt vmcnt(8) lgkmcnt(3)
	v_mul_f64 v[0:1], v[46:47], v[10:11]
	v_mul_f64 v[10:11], v[44:45], v[10:11]
	s_waitcnt vmcnt(7) lgkmcnt(1)
	v_mul_f64 v[56:57], v[63:64], v[14:15]
	v_mul_f64 v[14:15], v[61:62], v[14:15]
	v_fma_f64 v[44:45], v[44:45], v[8:9], v[0:1]
	s_waitcnt vmcnt(6) lgkmcnt(0)
	v_mul_f64 v[0:1], v[67:68], v[18:19]
	v_fma_f64 v[46:47], v[46:47], v[8:9], -v[10:11]
	v_mul_f64 v[18:19], v[65:66], v[18:19]
	v_fma_f64 v[56:57], v[61:62], v[12:13], v[56:57]
	v_fma_f64 v[61:62], v[63:64], v[12:13], -v[14:15]
	ds_read_b128 v[8:11], v58 offset:12000
	ds_read_b128 v[12:15], v58 offset:14400
	s_waitcnt vmcnt(5)
	v_mul_f64 v[63:64], v[71:72], v[22:23]
	v_mul_f64 v[22:23], v[69:70], v[22:23]
	v_fma_f64 v[65:66], v[65:66], v[16:17], v[0:1]
	s_waitcnt vmcnt(3) lgkmcnt(1)
	v_mul_f64 v[73:74], v[10:11], v[30:31]
	s_waitcnt lgkmcnt(0)
	v_mul_f64 v[0:1], v[14:15], v[26:27]
	v_mul_f64 v[26:27], v[12:13], v[26:27]
	v_fma_f64 v[67:68], v[67:68], v[16:17], -v[18:19]
	ds_read_b128 v[16:19], v58 offset:19200
	v_mul_f64 v[30:31], v[8:9], v[30:31]
	v_fma_f64 v[63:64], v[69:70], v[20:21], v[63:64]
	v_fma_f64 v[69:70], v[71:72], v[20:21], -v[22:23]
	v_fma_f64 v[73:74], v[8:9], v[28:29], v[73:74]
	v_fma_f64 v[0:1], v[12:13], v[24:25], v[0:1]
	v_fma_f64 v[24:25], v[14:15], v[24:25], -v[26:27]
	ds_read_b128 v[12:15], v58 offset:21600
	s_waitcnt vmcnt(2) lgkmcnt(1)
	v_mul_f64 v[71:72], v[16:17], v[34:35]
	v_fma_f64 v[28:29], v[10:11], v[28:29], -v[30:31]
	v_mul_f64 v[30:31], v[18:19], v[34:35]
	ds_read_b128 v[20:23], v58
	ds_read_b128 v[8:11], v58 offset:16800
	v_add_f64 v[26:27], v[63:64], v[0:1]
	v_add_f64 v[75:76], v[63:64], -v[56:57]
	s_waitcnt lgkmcnt(0)
	v_fma_f64 v[18:19], v[18:19], v[32:33], -v[71:72]
	s_waitcnt vmcnt(1)
	v_mul_f64 v[34:35], v[10:11], v[38:39]
	v_mul_f64 v[38:39], v[8:9], v[38:39]
	v_fma_f64 v[16:17], v[16:17], v[32:33], v[30:31]
	s_waitcnt vmcnt(0)
	v_mul_f64 v[30:31], v[14:15], v[42:43]
	v_mul_f64 v[32:33], v[12:13], v[42:43]
	v_add_f64 v[42:43], v[20:21], v[56:57]
	v_fma_f64 v[26:27], v[26:27], -0.5, v[20:21]
	v_add_f64 v[71:72], v[61:62], -v[18:19]
	v_fma_f64 v[8:9], v[8:9], v[36:37], v[34:35]
	v_fma_f64 v[10:11], v[10:11], v[36:37], -v[38:39]
	v_add_f64 v[36:37], v[69:70], -v[24:25]
	v_fma_f64 v[12:13], v[12:13], v[40:41], v[30:31]
	v_add_f64 v[30:31], v[56:57], v[16:17]
	v_fma_f64 v[14:15], v[14:15], v[40:41], -v[32:33]
	v_add_f64 v[32:33], v[42:43], v[63:64]
	v_fma_f64 v[34:35], v[71:72], s[10:11], v[26:27]
	v_add_f64 v[38:39], v[56:57], -v[63:64]
	v_add_f64 v[40:41], v[16:17], -v[0:1]
	v_fma_f64 v[26:27], v[71:72], s[2:3], v[26:27]
	v_add_f64 v[42:43], v[69:70], v[24:25]
	v_fma_f64 v[20:21], v[30:31], -0.5, v[20:21]
	v_add_f64 v[77:78], v[28:29], v[10:11]
	v_add_f64 v[30:31], v[32:33], v[0:1]
	v_fma_f64 v[32:33], v[36:37], s[14:15], v[34:35]
	s_barrier
	v_add_f64 v[34:35], v[38:39], v[40:41]
	v_fma_f64 v[26:27], v[36:37], s[4:5], v[26:27]
	v_add_f64 v[40:41], v[22:23], v[61:62]
	v_fma_f64 v[38:39], v[36:37], s[2:3], v[20:21]
	v_fma_f64 v[20:21], v[36:37], s[10:11], v[20:21]
	v_add_f64 v[36:37], v[0:1], -v[16:17]
	v_add_f64 v[30:31], v[30:31], v[16:17]
	v_fma_f64 v[42:43], v[42:43], -0.5, v[22:23]
	v_add_f64 v[16:17], v[56:57], -v[16:17]
	v_fma_f64 v[56:57], v[34:35], s[6:7], v[26:27]
	v_add_f64 v[40:41], v[40:41], v[69:70]
	v_add_f64 v[26:27], v[61:62], v[18:19]
	v_fma_f64 v[38:39], v[71:72], s[14:15], v[38:39]
	v_add_f64 v[36:37], v[75:76], v[36:37]
	v_fma_f64 v[32:33], v[34:35], s[6:7], v[32:33]
	v_fma_f64 v[20:21], v[71:72], s[4:5], v[20:21]
	v_add_f64 v[0:1], v[63:64], -v[0:1]
	v_add_f64 v[63:64], v[61:62], -v[69:70]
	v_add_f64 v[34:35], v[40:41], v[24:25]
	v_fma_f64 v[40:41], v[16:17], s[2:3], v[42:43]
	v_add_f64 v[71:72], v[18:19], -v[24:25]
	v_fma_f64 v[42:43], v[16:17], s[10:11], v[42:43]
	v_fma_f64 v[22:23], v[26:27], -0.5, v[22:23]
	v_add_f64 v[26:27], v[44:45], v[65:66]
	v_fma_f64 v[38:39], v[36:37], s[6:7], v[38:39]
	v_fma_f64 v[75:76], v[36:37], s[6:7], v[20:21]
	v_add_f64 v[35:36], v[34:35], v[18:19]
	v_fma_f64 v[20:21], v[0:1], s[4:5], v[40:41]
	v_add_f64 v[40:41], v[73:74], v[8:9]
	v_add_f64 v[63:64], v[63:64], v[71:72]
	v_fma_f64 v[42:43], v[0:1], s[14:15], v[42:43]
	v_fma_f64 v[71:72], v[0:1], s[10:11], v[22:23]
	v_add_f64 v[61:62], v[69:70], -v[61:62]
	v_add_f64 v[18:19], v[24:25], -v[18:19]
	v_fma_f64 v[22:23], v[0:1], s[2:3], v[22:23]
	v_add_f64 v[24:25], v[26:27], v[73:74]
	v_fma_f64 v[26:27], v[40:41], -0.5, v[44:45]
	v_add_f64 v[40:41], v[67:68], -v[14:15]
	v_fma_f64 v[69:70], v[63:64], s[6:7], v[20:21]
	v_fma_f64 v[0:1], v[63:64], s[6:7], v[42:43]
	;; [unrolled: 1-line block ×3, first 2 shown]
	v_add_f64 v[18:19], v[61:62], v[18:19]
	v_fma_f64 v[16:17], v[16:17], s[14:15], v[22:23]
	v_add_f64 v[22:23], v[24:25], v[8:9]
	v_add_f64 v[24:25], v[65:66], v[12:13]
	v_add_f64 v[63:64], v[65:66], -v[73:74]
	v_add_f64 v[71:72], v[12:13], -v[8:9]
	v_fma_f64 v[42:43], v[40:41], s[10:11], v[26:27]
	v_add_f64 v[61:62], v[28:29], -v[10:11]
	v_fma_f64 v[79:80], v[18:19], s[6:7], v[20:21]
	v_fma_f64 v[20:21], v[40:41], s[2:3], v[26:27]
	v_add_f64 v[81:82], v[22:23], v[12:13]
	v_fma_f64 v[24:25], v[24:25], -0.5, v[44:45]
	v_fma_f64 v[44:45], v[18:19], s[6:7], v[16:17]
	v_add_f64 v[18:19], v[63:64], v[71:72]
	v_fma_f64 v[22:23], v[77:78], -0.5, v[46:47]
	v_add_f64 v[26:27], v[65:66], -v[12:13]
	v_add_f64 v[63:64], v[67:68], v[14:15]
	v_fma_f64 v[16:17], v[61:62], s[14:15], v[42:43]
	v_fma_f64 v[20:21], v[61:62], s[4:5], v[20:21]
	v_fma_f64 v[42:43], v[61:62], s[2:3], v[24:25]
	v_add_f64 v[65:66], v[73:74], -v[65:66]
	v_add_f64 v[12:13], v[8:9], -v[12:13]
	v_fma_f64 v[24:25], v[61:62], s[10:11], v[24:25]
	v_add_f64 v[61:62], v[46:47], v[67:68]
	v_fma_f64 v[71:72], v[26:27], s[2:3], v[22:23]
	v_add_f64 v[8:9], v[73:74], -v[8:9]
	v_add_f64 v[73:74], v[67:68], -v[28:29]
	v_fma_f64 v[46:47], v[63:64], -0.5, v[46:47]
	v_add_f64 v[63:64], v[14:15], -v[10:11]
	v_fma_f64 v[22:23], v[26:27], s[10:11], v[22:23]
	v_fma_f64 v[42:43], v[40:41], s[14:15], v[42:43]
	v_add_f64 v[61:62], v[61:62], v[28:29]
	v_add_f64 v[28:29], v[28:29], -v[67:68]
	v_fma_f64 v[71:72], v[8:9], s[4:5], v[71:72]
	v_add_f64 v[67:68], v[10:11], -v[14:15]
	v_add_f64 v[12:13], v[65:66], v[12:13]
	v_add_f64 v[63:64], v[73:74], v[63:64]
	v_fma_f64 v[73:74], v[8:9], s[10:11], v[46:47]
	v_fma_f64 v[46:47], v[8:9], s[2:3], v[46:47]
	;; [unrolled: 1-line block ×3, first 2 shown]
	v_add_f64 v[10:11], v[61:62], v[10:11]
	v_fma_f64 v[8:9], v[8:9], s[14:15], v[22:23]
	v_add_f64 v[28:29], v[28:29], v[67:68]
	v_fma_f64 v[16:17], v[18:19], s[6:7], v[16:17]
	v_fma_f64 v[40:41], v[63:64], s[6:7], v[71:72]
	;; [unrolled: 1-line block ×7, first 2 shown]
	v_add_f64 v[46:47], v[10:11], v[14:15]
	v_fma_f64 v[14:15], v[63:64], s[6:7], v[8:9]
	v_mul_f64 v[12:13], v[40:41], s[14:15]
	v_fma_f64 v[24:25], v[28:29], s[6:7], v[65:66]
	v_fma_f64 v[26:27], v[28:29], s[6:7], v[26:27]
	v_mul_f64 v[40:41], v[40:41], s[18:19]
	v_add_f64 v[9:10], v[30:31], v[81:82]
	v_mov_b32_e32 v8, 4
	v_mul_f64 v[61:62], v[14:15], s[14:15]
	v_fma_f64 v[42:43], v[16:17], s[18:19], v[12:13]
	v_mul_f64 v[11:12], v[24:25], s[10:11]
	v_mul_f64 v[24:25], v[24:25], s[6:7]
	;; [unrolled: 1-line block ×5, first 2 shown]
	v_fma_f64 v[71:72], v[16:17], s[4:5], v[40:41]
	v_fma_f64 v[61:62], v[18:19], s[20:21], v[61:62]
	v_add_f64 v[13:14], v[32:33], v[42:43]
	v_fma_f64 v[65:66], v[20:21], s[6:7], v[11:12]
	v_fma_f64 v[73:74], v[20:21], s[2:3], v[24:25]
	;; [unrolled: 1-line block ×5, first 2 shown]
	v_add_f64 v[11:12], v[35:36], v[46:47]
	v_add_f64 v[15:16], v[69:70], v[71:72]
	;; [unrolled: 1-line block ×8, first 2 shown]
	v_add_f64 v[29:30], v[30:31], -v[81:82]
	v_add_f64 v[33:34], v[32:33], -v[42:43]
	;; [unrolled: 1-line block ×5, first 2 shown]
	v_mul_u32_u24_e32 v0, 0x320, v3
	v_lshlrev_b32_sdwa v1, v8, v4 dst_sel:DWORD dst_unused:UNUSED_PAD src0_sel:DWORD src1_sel:BYTE_0
	v_add_f64 v[37:38], v[38:39], -v[65:66]
	v_add_f64 v[39:40], v[79:80], -v[73:74]
	v_add3_u32 v0, 0, v0, v1
	v_add_f64 v[41:42], v[75:76], -v[67:68]
	v_add_f64 v[61:62], v[56:57], -v[61:62]
	;; [unrolled: 1-line block ×3, first 2 shown]
	ds_write_b128 v0, v[9:12]
	ds_write_b128 v0, v[13:16] offset:80
	ds_write_b128 v0, v[17:20] offset:160
	;; [unrolled: 1-line block ×9, first 2 shown]
	v_mov_b32_e32 v0, 41
	v_mul_lo_u16_sdwa v0, v48, v0 dst_sel:DWORD dst_unused:UNUSED_PAD src0_sel:BYTE_0 src1_sel:DWORD
	v_lshrrev_b16_e32 v10, 11, v0
	v_mul_lo_u16_e32 v0, 50, v10
	v_sub_u16_e32 v9, v48, v0
	v_mul_u32_u24_sdwa v0, v9, v2 dst_sel:DWORD dst_unused:UNUSED_PAD src0_sel:BYTE_0 src1_sel:DWORD
	v_lshlrev_b32_e32 v4, 4, v0
	s_waitcnt lgkmcnt(0)
	s_barrier
	global_load_dwordx4 v[0:3], v4, s[8:9] offset:720
	global_load_dwordx4 v[11:14], v4, s[8:9] offset:736
	;; [unrolled: 1-line block ×9, first 2 shown]
	ds_read_b128 v[43:46], v7
	ds_read_b128 v[61:64], v60
	ds_read_b128 v[65:68], v58 offset:9600
	s_waitcnt vmcnt(8) lgkmcnt(2)
	v_mul_f64 v[56:57], v[45:46], v[2:3]
	v_mul_f64 v[69:70], v[43:44], v[2:3]
	s_waitcnt vmcnt(7) lgkmcnt(1)
	v_mul_f64 v[71:72], v[63:64], v[13:14]
	ds_read_b128 v[2:5], v59
	v_mul_f64 v[13:14], v[61:62], v[13:14]
	v_fma_f64 v[56:57], v[43:44], v[0:1], v[56:57]
	v_fma_f64 v[69:70], v[45:46], v[0:1], -v[69:70]
	s_waitcnt vmcnt(6) lgkmcnt(0)
	v_mul_f64 v[0:1], v[4:5], v[17:18]
	v_mul_f64 v[17:18], v[2:3], v[17:18]
	v_fma_f64 v[61:62], v[61:62], v[11:12], v[71:72]
	s_waitcnt vmcnt(5)
	v_mul_f64 v[71:72], v[67:68], v[21:22]
	v_mul_f64 v[21:22], v[65:66], v[21:22]
	v_fma_f64 v[63:64], v[63:64], v[11:12], -v[13:14]
	ds_read_b128 v[11:14], v58 offset:12000
	ds_read_b128 v[43:46], v58 offset:14400
	v_fma_f64 v[73:74], v[2:3], v[15:16], v[0:1]
	v_fma_f64 v[75:76], v[4:5], v[15:16], -v[17:18]
	s_waitcnt vmcnt(4) lgkmcnt(1)
	v_mul_f64 v[4:5], v[13:14], v[25:26]
	s_waitcnt vmcnt(3) lgkmcnt(0)
	v_mul_f64 v[77:78], v[45:46], v[29:30]
	v_mul_f64 v[25:26], v[11:12], v[25:26]
	v_fma_f64 v[65:66], v[65:66], v[19:20], v[71:72]
	v_fma_f64 v[67:68], v[67:68], v[19:20], -v[21:22]
	v_mul_f64 v[19:20], v[43:44], v[29:30]
	ds_read_b128 v[0:3], v58 offset:19200
	ds_read_b128 v[15:18], v58
	v_fma_f64 v[29:30], v[11:12], v[23:24], v[4:5]
	v_fma_f64 v[4:5], v[43:44], v[27:28], v[77:78]
	v_fma_f64 v[23:24], v[13:14], v[23:24], -v[25:26]
	ds_read_b128 v[11:14], v58 offset:16800
	v_fma_f64 v[27:28], v[45:46], v[27:28], -v[19:20]
	ds_read_b128 v[19:22], v58 offset:21600
	s_waitcnt vmcnt(2) lgkmcnt(3)
	v_mul_f64 v[43:44], v[0:1], v[33:34]
	v_mul_f64 v[25:26], v[2:3], v[33:34]
	s_waitcnt lgkmcnt(2)
	v_add_f64 v[33:34], v[15:16], v[61:62]
	v_add_f64 v[45:46], v[65:66], v[4:5]
	s_waitcnt vmcnt(0) lgkmcnt(0)
	s_barrier
	v_fma_f64 v[2:3], v[2:3], v[31:32], -v[43:44]
	v_fma_f64 v[0:1], v[0:1], v[31:32], v[25:26]
	v_mul_f64 v[25:26], v[11:12], v[37:38]
	v_mul_f64 v[43:44], v[13:14], v[37:38]
	;; [unrolled: 1-line block ×4, first 2 shown]
	v_add_f64 v[33:34], v[33:34], v[65:66]
	v_fma_f64 v[41:42], v[45:46], -0.5, v[15:16]
	v_add_f64 v[45:46], v[63:64], -v[2:3]
	v_add_f64 v[71:72], v[4:5], -v[0:1]
	v_fma_f64 v[13:14], v[13:14], v[35:36], -v[25:26]
	v_add_f64 v[25:26], v[61:62], v[0:1]
	v_fma_f64 v[11:12], v[11:12], v[35:36], v[43:44]
	v_fma_f64 v[19:20], v[19:20], v[39:40], v[31:32]
	v_fma_f64 v[21:22], v[21:22], v[39:40], -v[37:38]
	v_add_f64 v[31:32], v[33:34], v[4:5]
	v_fma_f64 v[33:34], v[45:46], s[10:11], v[41:42]
	v_add_f64 v[35:36], v[67:68], -v[27:28]
	v_add_f64 v[37:38], v[61:62], -v[65:66]
	;; [unrolled: 1-line block ×3, first 2 shown]
	v_fma_f64 v[15:16], v[25:26], -0.5, v[15:16]
	v_add_f64 v[43:44], v[65:66], -v[61:62]
	v_add_f64 v[4:5], v[65:66], -v[4:5]
	v_add_f64 v[31:32], v[31:32], v[0:1]
	v_add_f64 v[0:1], v[61:62], -v[0:1]
	v_fma_f64 v[25:26], v[35:36], s[14:15], v[33:34]
	v_add_f64 v[61:62], v[17:18], v[63:64]
	v_add_f64 v[33:34], v[37:38], v[39:40]
	;; [unrolled: 1-line block ×3, first 2 shown]
	v_fma_f64 v[39:40], v[45:46], s[2:3], v[41:42]
	v_fma_f64 v[41:42], v[35:36], s[2:3], v[15:16]
	;; [unrolled: 1-line block ×4, first 2 shown]
	v_fma_f64 v[37:38], v[37:38], -0.5, v[17:18]
	v_fma_f64 v[25:26], v[35:36], s[4:5], v[39:40]
	v_fma_f64 v[35:36], v[45:46], s[14:15], v[41:42]
	v_add_f64 v[41:42], v[63:64], v[2:3]
	v_add_f64 v[39:40], v[43:44], v[71:72]
	v_fma_f64 v[15:16], v[45:46], s[4:5], v[15:16]
	v_add_f64 v[43:44], v[61:62], v[67:68]
	v_add_f64 v[61:62], v[2:3], -v[27:28]
	v_fma_f64 v[45:46], v[0:1], s[2:3], v[37:38]
	v_fma_f64 v[33:34], v[33:34], s[6:7], v[25:26]
	v_add_f64 v[25:26], v[63:64], -v[67:68]
	v_fma_f64 v[17:18], v[41:42], -0.5, v[17:18]
	v_fma_f64 v[65:66], v[39:40], s[6:7], v[35:36]
	v_fma_f64 v[41:42], v[39:40], s[6:7], v[15:16]
	v_add_f64 v[15:16], v[43:44], v[27:28]
	v_add_f64 v[39:40], v[56:57], v[73:74]
	;; [unrolled: 1-line block ×3, first 2 shown]
	v_fma_f64 v[35:36], v[4:5], s[4:5], v[45:46]
	v_add_f64 v[25:26], v[25:26], v[61:62]
	v_fma_f64 v[37:38], v[0:1], s[10:11], v[37:38]
	v_fma_f64 v[45:46], v[4:5], s[10:11], v[17:18]
	v_add_f64 v[61:62], v[67:68], -v[63:64]
	v_add_f64 v[27:28], v[27:28], -v[2:3]
	v_fma_f64 v[17:18], v[4:5], s[2:3], v[17:18]
	v_add_f64 v[39:40], v[39:40], v[29:30]
	v_fma_f64 v[43:44], v[43:44], -0.5, v[56:57]
	v_add_f64 v[63:64], v[75:76], -v[21:22]
	v_add_f64 v[67:68], v[15:16], v[2:3]
	v_fma_f64 v[2:3], v[4:5], s[14:15], v[37:38]
	v_fma_f64 v[4:5], v[0:1], s[4:5], v[45:46]
	v_add_f64 v[15:16], v[61:62], v[27:28]
	v_fma_f64 v[0:1], v[0:1], s[14:15], v[17:18]
	v_fma_f64 v[71:72], v[25:26], s[6:7], v[35:36]
	v_add_f64 v[17:18], v[39:40], v[11:12]
	v_fma_f64 v[27:28], v[63:64], s[10:11], v[43:44]
	v_add_f64 v[35:36], v[23:24], -v[13:14]
	v_add_f64 v[37:38], v[73:74], -v[29:30]
	;; [unrolled: 1-line block ×3, first 2 shown]
	v_fma_f64 v[2:3], v[25:26], s[6:7], v[2:3]
	v_fma_f64 v[45:46], v[15:16], s[6:7], v[4:5]
	v_add_f64 v[25:26], v[73:74], v[19:20]
	v_fma_f64 v[4:5], v[15:16], s[6:7], v[0:1]
	v_add_f64 v[15:16], v[23:24], v[13:14]
	v_add_f64 v[0:1], v[17:18], v[19:20]
	v_fma_f64 v[17:18], v[35:36], s[14:15], v[27:28]
	v_add_f64 v[27:28], v[37:38], v[39:40]
	v_add_f64 v[37:38], v[75:76], v[21:22]
	v_fma_f64 v[39:40], v[63:64], s[2:3], v[43:44]
	v_fma_f64 v[25:26], v[25:26], -0.5, v[56:57]
	v_add_f64 v[61:62], v[73:74], -v[19:20]
	v_fma_f64 v[15:16], v[15:16], -0.5, v[69:70]
	v_add_f64 v[43:44], v[29:30], -v[73:74]
	v_add_f64 v[56:57], v[69:70], v[75:76]
	v_add_f64 v[73:74], v[75:76], -v[23:24]
	v_fma_f64 v[37:38], v[37:38], -0.5, v[69:70]
	v_add_f64 v[69:70], v[21:22], -v[13:14]
	v_add_f64 v[29:30], v[29:30], -v[11:12]
	v_fma_f64 v[39:40], v[35:36], s[4:5], v[39:40]
	v_add_f64 v[11:12], v[11:12], -v[19:20]
	v_fma_f64 v[19:20], v[35:36], s[2:3], v[25:26]
	v_fma_f64 v[25:26], v[35:36], s[10:11], v[25:26]
	;; [unrolled: 1-line block ×3, first 2 shown]
	v_add_f64 v[56:57], v[56:57], v[23:24]
	v_add_f64 v[69:70], v[73:74], v[69:70]
	v_fma_f64 v[73:74], v[29:30], s[10:11], v[37:38]
	v_add_f64 v[23:24], v[23:24], -v[75:76]
	v_add_f64 v[75:76], v[13:14], -v[21:22]
	v_fma_f64 v[37:38], v[29:30], s[2:3], v[37:38]
	v_fma_f64 v[15:16], v[61:62], s[10:11], v[15:16]
	;; [unrolled: 1-line block ×4, first 2 shown]
	v_add_f64 v[11:12], v[43:44], v[11:12]
	v_fma_f64 v[73:74], v[61:62], s[4:5], v[73:74]
	v_add_f64 v[13:14], v[56:57], v[13:14]
	v_add_f64 v[23:24], v[23:24], v[75:76]
	v_fma_f64 v[37:38], v[61:62], s[14:15], v[37:38]
	v_fma_f64 v[15:16], v[29:30], s[14:15], v[15:16]
	;; [unrolled: 1-line block ×6, first 2 shown]
	v_add_f64 v[56:57], v[13:14], v[21:22]
	v_fma_f64 v[35:36], v[23:24], s[6:7], v[73:74]
	v_fma_f64 v[23:24], v[23:24], s[6:7], v[37:38]
	;; [unrolled: 1-line block ×3, first 2 shown]
	v_mul_f64 v[37:38], v[29:30], s[14:15]
	v_mul_f64 v[29:30], v[29:30], s[18:19]
	v_fma_f64 v[25:26], v[11:12], s[6:7], v[25:26]
	v_fma_f64 v[27:28], v[27:28], s[6:7], v[39:40]
	v_add_f64 v[11:12], v[31:32], v[0:1]
	v_mul_f64 v[13:14], v[35:36], s[10:11]
	v_mul_f64 v[35:36], v[35:36], s[6:7]
	;; [unrolled: 1-line block ×6, first 2 shown]
	v_fma_f64 v[37:38], v[17:18], s[18:19], v[37:38]
	v_fma_f64 v[73:74], v[17:18], s[4:5], v[29:30]
	v_fma_f64 v[61:62], v[19:20], s[6:7], v[13:14]
	v_fma_f64 v[75:76], v[19:20], s[2:3], v[35:36]
	v_fma_f64 v[63:64], v[25:26], s[16:17], v[21:22]
	v_fma_f64 v[79:80], v[25:26], s[2:3], v[23:24]
	v_fma_f64 v[69:70], v[27:28], s[20:21], v[39:40]
	v_fma_f64 v[81:82], v[27:28], s[4:5], v[43:44]
	v_add_f64 v[13:14], v[67:68], v[56:57]
	v_add_f64 v[15:16], v[77:78], v[37:38]
	;; [unrolled: 1-line block ×9, first 2 shown]
	v_add_f64 v[31:32], v[31:32], -v[0:1]
	v_add_f64 v[0:1], v[33:34], -v[69:70]
	;; [unrolled: 1-line block ×8, first 2 shown]
	v_mul_u32_u24_e32 v4, 0x1f40, v10
	v_lshlrev_b32_sdwa v5, v8, v9 dst_sel:DWORD dst_unused:UNUSED_PAD src0_sel:DWORD src1_sel:BYTE_0
	v_add_f64 v[39:40], v[65:66], -v[61:62]
	v_add3_u32 v4, 0, v4, v5
	v_add_f64 v[2:3], v[2:3], -v[81:82]
	ds_write_b128 v4, v[11:14]
	ds_write_b128 v4, v[15:18] offset:800
	ds_write_b128 v4, v[19:22] offset:1600
	;; [unrolled: 1-line block ×9, first 2 shown]
	s_waitcnt lgkmcnt(0)
	s_barrier
	ds_read_b128 v[20:23], v58
	ds_read_b128 v[44:47], v58 offset:8000
	ds_read_b128 v[40:43], v58 offset:16000
	;; [unrolled: 1-line block ×3, first 2 shown]
	ds_read_b128 v[16:19], v7
	ds_read_b128 v[12:15], v60
	ds_read_b128 v[36:39], v58 offset:10400
	ds_read_b128 v[28:31], v58 offset:12800
	;; [unrolled: 1-line block ×3, first 2 shown]
                                        ; implicit-def: $vgpr10_vgpr11
                                        ; implicit-def: $vgpr6_vgpr7
	s_and_saveexec_b64 s[2:3], vcc
	s_cbranch_execz .LBB0_15
; %bb.14:
	ds_read_b128 v[0:3], v59
	ds_read_b128 v[4:7], v58 offset:15200
	ds_read_b128 v[8:11], v58 offset:23200
.LBB0_15:
	s_or_b64 exec, exec, s[2:3]
	v_lshlrev_b32_e32 v56, 1, v48
	v_mov_b32_e32 v57, 0
	v_lshlrev_b64 v[61:62], 4, v[56:57]
	v_mov_b32_e32 v73, s9
	v_add_co_u32_e64 v56, s[2:3], s8, v61
	v_addc_co_u32_e64 v61, s[2:3], v73, v62, s[2:3]
	s_movk_i32 s4, 0x1ef0
	v_add_co_u32_e64 v69, s[2:3], s4, v56
	v_addc_co_u32_e64 v70, s[2:3], 0, v61, s[2:3]
	s_movk_i32 s10, 0x1000
	v_add_co_u32_e64 v71, s[2:3], s10, v56
	v_addc_co_u32_e64 v72, s[2:3], 0, v61, s[2:3]
	global_load_dwordx4 v[61:64], v[71:72], off offset:3824
	global_load_dwordx4 v[65:68], v[69:70], off offset:16
	v_lshlrev_b32_e32 v56, 1, v52
	s_mov_b32 s5, 0x3febb67a
	s_waitcnt vmcnt(1) lgkmcnt(7)
	v_mul_f64 v[69:70], v[46:47], v[63:64]
	v_fma_f64 v[69:70], v[44:45], v[61:62], v[69:70]
	v_mul_f64 v[44:45], v[44:45], v[63:64]
	v_fma_f64 v[61:62], v[46:47], v[61:62], -v[44:45]
	s_waitcnt vmcnt(0) lgkmcnt(6)
	v_mul_f64 v[44:45], v[42:43], v[67:68]
	v_fma_f64 v[63:64], v[40:41], v[65:66], v[44:45]
	v_mul_f64 v[40:41], v[40:41], v[67:68]
	v_fma_f64 v[65:66], v[42:43], v[65:66], -v[40:41]
	v_lshlrev_b64 v[40:41], 4, v[56:57]
	v_lshlrev_b32_e32 v56, 1, v55
	v_add_co_u32_e64 v40, s[2:3], s8, v40
	v_addc_co_u32_e64 v41, s[2:3], v73, v41, s[2:3]
	v_add_co_u32_e64 v67, s[2:3], s4, v40
	v_addc_co_u32_e64 v68, s[2:3], 0, v41, s[2:3]
	v_add_co_u32_e64 v71, s[2:3], s10, v40
	v_addc_co_u32_e64 v72, s[2:3], 0, v41, s[2:3]
	global_load_dwordx4 v[40:43], v[71:72], off offset:3824
	global_load_dwordx4 v[44:47], v[67:68], off offset:16
	s_waitcnt vmcnt(1) lgkmcnt(2)
	v_mul_f64 v[67:68], v[38:39], v[42:43]
	v_fma_f64 v[67:68], v[36:37], v[40:41], v[67:68]
	v_mul_f64 v[36:37], v[36:37], v[42:43]
	v_fma_f64 v[40:41], v[38:39], v[40:41], -v[36:37]
	s_waitcnt vmcnt(0)
	v_mul_f64 v[36:37], v[34:35], v[46:47]
	v_fma_f64 v[42:43], v[32:33], v[44:45], v[36:37]
	v_mul_f64 v[32:33], v[32:33], v[46:47]
	v_fma_f64 v[44:45], v[34:35], v[44:45], -v[32:33]
	v_lshlrev_b64 v[32:33], 4, v[56:57]
	v_add_co_u32_e64 v32, s[2:3], s8, v32
	v_addc_co_u32_e64 v33, s[2:3], v73, v33, s[2:3]
	v_add_co_u32_e64 v46, s[2:3], s4, v32
	v_addc_co_u32_e64 v47, s[2:3], 0, v33, s[2:3]
	;; [unrolled: 2-line block ×3, first 2 shown]
	global_load_dwordx4 v[32:35], v[71:72], off offset:3824
	global_load_dwordx4 v[36:39], v[46:47], off offset:16
	s_mov_b32 s2, 0xe8584caa
	s_mov_b32 s3, 0xbfebb67a
	;; [unrolled: 1-line block ×3, first 2 shown]
	s_waitcnt vmcnt(0) lgkmcnt(0)
	s_barrier
	v_mul_f64 v[46:47], v[30:31], v[34:35]
	v_fma_f64 v[46:47], v[28:29], v[32:33], v[46:47]
	v_mul_f64 v[28:29], v[28:29], v[34:35]
	v_add_f64 v[34:35], v[67:68], v[42:43]
	v_fma_f64 v[71:72], v[30:31], v[32:33], -v[28:29]
	v_mul_f64 v[28:29], v[26:27], v[38:39]
	v_add_f64 v[30:31], v[61:62], v[65:66]
	v_add_f64 v[32:33], v[69:70], -v[63:64]
	v_fma_f64 v[34:35], v[34:35], -0.5, v[16:17]
	v_fma_f64 v[73:74], v[24:25], v[36:37], v[28:29]
	v_mul_f64 v[24:25], v[24:25], v[38:39]
	v_add_f64 v[28:29], v[61:62], -v[65:66]
	v_fma_f64 v[30:31], v[30:31], -0.5, v[22:23]
	v_add_f64 v[38:39], v[40:41], v[44:45]
	v_fma_f64 v[75:76], v[26:27], v[36:37], -v[24:25]
	v_add_f64 v[26:27], v[69:70], v[63:64]
	v_add_f64 v[24:25], v[20:21], v[69:70]
	v_add_f64 v[36:37], v[40:41], -v[44:45]
	v_fma_f64 v[38:39], v[38:39], -0.5, v[18:19]
	v_fma_f64 v[26:27], v[26:27], -0.5, v[20:21]
	v_add_f64 v[24:25], v[24:25], v[63:64]
	v_fma_f64 v[20:21], v[28:29], s[2:3], v[26:27]
	v_fma_f64 v[28:29], v[28:29], s[4:5], v[26:27]
	v_add_f64 v[26:27], v[22:23], v[61:62]
	v_fma_f64 v[22:23], v[32:33], s[4:5], v[30:31]
	v_fma_f64 v[30:31], v[32:33], s[2:3], v[30:31]
	;; [unrolled: 3-line block ×3, first 2 shown]
	v_add_f64 v[34:35], v[18:19], v[40:41]
	v_add_f64 v[40:41], v[67:68], -v[42:43]
	v_add_f64 v[26:27], v[26:27], v[65:66]
	ds_write_b128 v58, v[24:27]
	ds_write_b128 v58, v[20:23] offset:8000
	ds_write_b128 v58, v[28:31] offset:16000
	v_add_f64 v[32:33], v[32:33], v[42:43]
	v_add_f64 v[42:43], v[46:47], v[73:74]
	v_fma_f64 v[18:19], v[40:41], s[4:5], v[38:39]
	v_fma_f64 v[38:39], v[40:41], s[2:3], v[38:39]
	v_add_f64 v[40:41], v[12:13], v[46:47]
	v_add_f64 v[34:35], v[34:35], v[44:45]
	v_fma_f64 v[12:13], v[42:43], -0.5, v[12:13]
	v_add_f64 v[42:43], v[71:72], -v[75:76]
	v_add_f64 v[40:41], v[40:41], v[73:74]
	v_fma_f64 v[44:45], v[42:43], s[2:3], v[12:13]
	v_fma_f64 v[61:62], v[42:43], s[4:5], v[12:13]
	v_add_f64 v[12:13], v[14:15], v[71:72]
	v_add_f64 v[42:43], v[12:13], v[75:76]
	;; [unrolled: 1-line block ×3, first 2 shown]
	v_fma_f64 v[12:13], v[12:13], -0.5, v[14:15]
	v_add_f64 v[14:15], v[46:47], -v[73:74]
	v_fma_f64 v[46:47], v[14:15], s[4:5], v[12:13]
	v_fma_f64 v[63:64], v[14:15], s[2:3], v[12:13]
	v_add_u32_e32 v12, v49, v53
	ds_write_b128 v12, v[32:35]
	ds_write_b128 v12, v[16:19] offset:8000
	ds_write_b128 v12, v[36:39] offset:16000
	ds_write_b128 v60, v[40:43]
	ds_write_b128 v60, v[44:47] offset:8000
	ds_write_b128 v60, v[61:64] offset:16000
	s_and_saveexec_b64 s[6:7], vcc
	s_cbranch_execz .LBB0_17
; %bb.16:
	v_subrev_u32_e32 v13, 50, v48
	v_cndmask_b32_e32 v13, v13, v54, vcc
	v_lshlrev_b32_e32 v56, 1, v13
	v_lshlrev_b64 v[13:14], 4, v[56:57]
	v_mov_b32_e32 v15, s9
	v_add_co_u32_e32 v13, vcc, s8, v13
	v_addc_co_u32_e32 v14, vcc, v15, v14, vcc
	v_add_co_u32_e32 v21, vcc, 0x1ef0, v13
	v_addc_co_u32_e32 v22, vcc, 0, v14, vcc
	v_add_co_u32_e32 v23, vcc, s10, v13
	v_addc_co_u32_e32 v24, vcc, 0, v14, vcc
	global_load_dwordx4 v[13:16], v[23:24], off offset:3824
	global_load_dwordx4 v[17:20], v[21:22], off offset:16
	s_waitcnt vmcnt(1)
	v_mul_f64 v[21:22], v[4:5], v[15:16]
	s_waitcnt vmcnt(0)
	v_mul_f64 v[23:24], v[8:9], v[19:20]
	v_mul_f64 v[15:16], v[6:7], v[15:16]
	;; [unrolled: 1-line block ×3, first 2 shown]
	v_fma_f64 v[6:7], v[6:7], v[13:14], -v[21:22]
	v_fma_f64 v[10:11], v[10:11], v[17:18], -v[23:24]
	v_fma_f64 v[4:5], v[4:5], v[13:14], v[15:16]
	v_fma_f64 v[8:9], v[8:9], v[17:18], v[19:20]
	v_add_f64 v[19:20], v[2:3], v[6:7]
	v_add_f64 v[13:14], v[6:7], v[10:11]
	v_add_f64 v[21:22], v[6:7], -v[10:11]
	v_add_f64 v[15:16], v[4:5], v[8:9]
	v_add_f64 v[17:18], v[4:5], -v[8:9]
	v_add_f64 v[4:5], v[0:1], v[4:5]
	v_fma_f64 v[13:14], v[13:14], -0.5, v[2:3]
	v_add_f64 v[2:3], v[19:20], v[10:11]
	v_fma_f64 v[15:16], v[15:16], -0.5, v[0:1]
	v_add_f64 v[0:1], v[4:5], v[8:9]
	v_fma_f64 v[10:11], v[17:18], s[4:5], v[13:14]
	v_fma_f64 v[6:7], v[17:18], s[2:3], v[13:14]
	;; [unrolled: 1-line block ×4, first 2 shown]
	ds_write_b128 v58, v[0:3] offset:7200
	ds_write_b128 v58, v[8:11] offset:15200
	;; [unrolled: 1-line block ×3, first 2 shown]
.LBB0_17:
	s_or_b64 exec, exec, s[6:7]
	s_waitcnt lgkmcnt(0)
	s_barrier
	ds_read_b128 v[4:7], v58
	s_add_u32 s4, s8, 0x5d70
	v_lshlrev_b32_e32 v0, 4, v48
	s_addc_u32 s5, s9, 0
	v_sub_u32_e32 v13, 0, v0
	v_cmp_ne_u32_e32 vcc, 0, v48
                                        ; implicit-def: $vgpr0_vgpr1
                                        ; implicit-def: $vgpr8_vgpr9
                                        ; implicit-def: $vgpr10_vgpr11
	s_and_saveexec_b64 s[2:3], vcc
	s_xor_b64 s[2:3], exec, s[2:3]
	s_cbranch_execz .LBB0_19
; %bb.18:
	v_mov_b32_e32 v49, 0
	v_lshlrev_b64 v[0:1], 4, v[48:49]
	v_mov_b32_e32 v2, s5
	v_add_co_u32_e32 v0, vcc, s4, v0
	v_addc_co_u32_e32 v1, vcc, v2, v1, vcc
	global_load_dwordx4 v[14:17], v[0:1], off
	ds_read_b128 v[0:3], v13 offset:24000
	s_waitcnt lgkmcnt(0)
	v_add_f64 v[8:9], v[4:5], -v[0:1]
	v_add_f64 v[10:11], v[6:7], v[2:3]
	v_add_f64 v[2:3], v[6:7], -v[2:3]
	v_add_f64 v[0:1], v[4:5], v[0:1]
	v_mul_f64 v[6:7], v[8:9], 0.5
	v_mul_f64 v[4:5], v[10:11], 0.5
	;; [unrolled: 1-line block ×3, first 2 shown]
	s_waitcnt vmcnt(0)
	v_mul_f64 v[8:9], v[6:7], v[16:17]
	v_fma_f64 v[10:11], v[4:5], v[16:17], v[2:3]
	v_fma_f64 v[2:3], v[4:5], v[16:17], -v[2:3]
	v_fma_f64 v[18:19], v[0:1], 0.5, v[8:9]
	v_fma_f64 v[0:1], v[0:1], 0.5, -v[8:9]
	v_fma_f64 v[10:11], -v[14:15], v[6:7], v[10:11]
	v_fma_f64 v[2:3], -v[14:15], v[6:7], v[2:3]
	v_fma_f64 v[8:9], v[4:5], v[14:15], v[18:19]
	v_fma_f64 v[0:1], -v[4:5], v[14:15], v[0:1]
                                        ; implicit-def: $vgpr4_vgpr5
.LBB0_19:
	s_andn2_saveexec_b64 s[2:3], s[2:3]
	s_cbranch_execz .LBB0_21
; %bb.20:
	s_waitcnt lgkmcnt(0)
	v_add_f64 v[8:9], v[4:5], v[6:7]
	v_add_f64 v[0:1], v[4:5], -v[6:7]
	v_mov_b32_e32 v4, 0
	ds_read_b64 v[2:3], v4 offset:12008
	v_mov_b32_e32 v10, 0
	v_mov_b32_e32 v11, 0
	s_waitcnt lgkmcnt(0)
	v_xor_b32_e32 v3, 0x80000000, v3
	ds_write_b64 v4, v[2:3] offset:12008
	v_mov_b32_e32 v2, v10
	v_mov_b32_e32 v3, v11
.LBB0_21:
	s_or_b64 exec, exec, s[2:3]
	v_mov_b32_e32 v53, 0
	s_waitcnt lgkmcnt(0)
	v_lshlrev_b64 v[4:5], 4, v[52:53]
	v_mov_b32_e32 v6, s5
	v_add_co_u32_e32 v4, vcc, s4, v4
	v_addc_co_u32_e32 v5, vcc, v6, v5, vcc
	global_load_dwordx4 v[4:7], v[4:5], off
	v_mov_b32_e32 v56, v53
	v_lshlrev_b64 v[14:15], 4, v[55:56]
	v_mov_b32_e32 v16, s5
	v_add_co_u32_e32 v14, vcc, s4, v14
	v_addc_co_u32_e32 v15, vcc, v16, v15, vcc
	global_load_dwordx4 v[14:17], v[14:15], off
	ds_write2_b64 v58, v[8:9], v[10:11] offset1:1
	ds_write_b128 v13, v[0:3] offset:24000
	ds_read_b128 v[0:3], v12
	ds_read_b128 v[8:11], v13 offset:21600
	v_mov_b32_e32 v55, v53
	v_mov_b32_e32 v26, s5
	v_add_u32_e32 v52, 0x258, v48
	s_waitcnt lgkmcnt(0)
	v_add_f64 v[18:19], v[0:1], -v[8:9]
	v_add_f64 v[20:21], v[2:3], v[10:11]
	v_add_f64 v[2:3], v[2:3], -v[10:11]
	v_add_f64 v[0:1], v[0:1], v[8:9]
	v_mul_f64 v[10:11], v[18:19], 0.5
	v_mul_f64 v[18:19], v[20:21], 0.5
	;; [unrolled: 1-line block ×3, first 2 shown]
	v_lshlrev_b64 v[20:21], 4, v[54:55]
	s_waitcnt vmcnt(1)
	v_mul_f64 v[8:9], v[10:11], v[6:7]
	v_fma_f64 v[22:23], v[18:19], v[6:7], v[2:3]
	v_fma_f64 v[6:7], v[18:19], v[6:7], -v[2:3]
	v_fma_f64 v[24:25], v[0:1], 0.5, v[8:9]
	v_fma_f64 v[8:9], v[0:1], 0.5, -v[8:9]
	v_add_co_u32_e32 v0, vcc, s4, v20
	v_addc_co_u32_e32 v1, vcc, v26, v21, vcc
	global_load_dwordx4 v[0:3], v[0:1], off
	v_fma_f64 v[20:21], -v[4:5], v[10:11], v[22:23]
	v_fma_f64 v[6:7], -v[4:5], v[10:11], v[6:7]
	v_fma_f64 v[10:11], v[18:19], v[4:5], v[24:25]
	v_fma_f64 v[4:5], -v[18:19], v[4:5], v[8:9]
	ds_write_b64 v12, v[20:21] offset:8
	ds_write_b64 v13, v[6:7] offset:21608
	ds_write_b64 v12, v[10:11]
	ds_write_b64 v13, v[4:5] offset:21600
	ds_read_b128 v[4:7], v60
	ds_read_b128 v[8:11], v13 offset:19200
	v_mov_b32_e32 v12, s5
	s_waitcnt lgkmcnt(0)
	v_add_f64 v[18:19], v[4:5], -v[8:9]
	v_add_f64 v[20:21], v[6:7], v[10:11]
	v_add_f64 v[6:7], v[6:7], -v[10:11]
	v_add_f64 v[4:5], v[4:5], v[8:9]
	v_mul_f64 v[10:11], v[18:19], 0.5
	v_mul_f64 v[18:19], v[20:21], 0.5
	;; [unrolled: 1-line block ×3, first 2 shown]
	v_lshlrev_b64 v[20:21], 4, v[52:53]
	s_waitcnt vmcnt(1)
	v_mul_f64 v[8:9], v[10:11], v[16:17]
	v_fma_f64 v[22:23], v[18:19], v[16:17], v[6:7]
	v_fma_f64 v[16:17], v[18:19], v[16:17], -v[6:7]
	v_fma_f64 v[24:25], v[4:5], 0.5, v[8:9]
	v_fma_f64 v[8:9], v[4:5], 0.5, -v[8:9]
	v_add_co_u32_e32 v4, vcc, s4, v20
	v_addc_co_u32_e32 v5, vcc, v12, v21, vcc
	global_load_dwordx4 v[4:7], v[4:5], off
	v_fma_f64 v[20:21], -v[14:15], v[10:11], v[22:23]
	v_fma_f64 v[10:11], -v[14:15], v[10:11], v[16:17]
	v_fma_f64 v[16:17], v[18:19], v[14:15], v[24:25]
	v_fma_f64 v[8:9], -v[18:19], v[14:15], v[8:9]
	ds_write2_b64 v60, v[16:17], v[20:21] offset1:1
	ds_write_b128 v13, v[8:11] offset:19200
	ds_read_b128 v[8:11], v59
	ds_read_b128 v[14:17], v13 offset:16800
	s_waitcnt lgkmcnt(0)
	v_add_f64 v[18:19], v[8:9], -v[14:15]
	v_add_f64 v[20:21], v[10:11], v[16:17]
	v_add_f64 v[10:11], v[10:11], -v[16:17]
	v_add_f64 v[8:9], v[8:9], v[14:15]
	v_mul_f64 v[16:17], v[18:19], 0.5
	v_mul_f64 v[18:19], v[20:21], 0.5
	;; [unrolled: 1-line block ×3, first 2 shown]
	s_waitcnt vmcnt(1)
	v_mul_f64 v[14:15], v[16:17], v[2:3]
	v_fma_f64 v[20:21], v[18:19], v[2:3], v[10:11]
	v_fma_f64 v[2:3], v[18:19], v[2:3], -v[10:11]
	v_fma_f64 v[10:11], v[8:9], 0.5, v[14:15]
	v_fma_f64 v[8:9], v[8:9], 0.5, -v[14:15]
	v_fma_f64 v[14:15], -v[0:1], v[16:17], v[20:21]
	v_fma_f64 v[2:3], -v[0:1], v[16:17], v[2:3]
	v_fma_f64 v[10:11], v[18:19], v[0:1], v[10:11]
	v_fma_f64 v[0:1], -v[18:19], v[0:1], v[8:9]
	ds_write2_b64 v59, v[10:11], v[14:15] offset1:1
	ds_write_b128 v13, v[0:3] offset:16800
	ds_read_b128 v[0:3], v58 offset:9600
	ds_read_b128 v[8:11], v13 offset:14400
	s_waitcnt lgkmcnt(0)
	v_add_f64 v[14:15], v[0:1], -v[8:9]
	v_add_f64 v[16:17], v[2:3], v[10:11]
	v_add_f64 v[2:3], v[2:3], -v[10:11]
	v_add_f64 v[0:1], v[0:1], v[8:9]
	v_mul_f64 v[10:11], v[14:15], 0.5
	v_mul_f64 v[14:15], v[16:17], 0.5
	;; [unrolled: 1-line block ×3, first 2 shown]
	s_waitcnt vmcnt(0)
	v_mul_f64 v[8:9], v[10:11], v[6:7]
	v_fma_f64 v[16:17], v[14:15], v[6:7], v[2:3]
	v_fma_f64 v[2:3], v[14:15], v[6:7], -v[2:3]
	v_fma_f64 v[6:7], v[0:1], 0.5, v[8:9]
	v_fma_f64 v[0:1], v[0:1], 0.5, -v[8:9]
	v_fma_f64 v[8:9], -v[4:5], v[10:11], v[16:17]
	v_fma_f64 v[2:3], -v[4:5], v[10:11], v[2:3]
	v_fma_f64 v[6:7], v[14:15], v[4:5], v[6:7]
	v_fma_f64 v[0:1], -v[14:15], v[4:5], v[0:1]
	v_add_u32_e32 v4, 0x2000, v58
	ds_write2_b64 v4, v[6:7], v[8:9] offset0:176 offset1:177
	ds_write_b128 v13, v[0:3] offset:14400
	s_waitcnt lgkmcnt(0)
	s_barrier
	s_and_saveexec_b64 s[2:3], s[0:1]
	s_cbranch_execz .LBB0_24
; %bb.22:
	v_mov_b32_e32 v49, v53
	ds_read_b128 v[2:5], v58
	ds_read_b128 v[6:9], v58 offset:2400
	v_mov_b32_e32 v0, s13
	v_add_co_u32_e32 v1, vcc, s12, v50
	v_lshlrev_b64 v[10:11], 4, v[48:49]
	v_addc_co_u32_e32 v0, vcc, v0, v51, vcc
	v_add_co_u32_e32 v10, vcc, v1, v10
	v_addc_co_u32_e32 v11, vcc, v0, v11, vcc
	s_waitcnt lgkmcnt(1)
	global_store_dwordx4 v[10:11], v[2:5], off
	s_waitcnt lgkmcnt(0)
	global_store_dwordx4 v[10:11], v[6:9], off offset:2400
	ds_read_b128 v[2:5], v58 offset:4800
	ds_read_b128 v[6:9], v58 offset:7200
	v_add_co_u32_e32 v12, vcc, 0x1000, v10
	v_addc_co_u32_e32 v13, vcc, 0, v11, vcc
	s_waitcnt lgkmcnt(1)
	global_store_dwordx4 v[12:13], v[2:5], off offset:704
	s_waitcnt lgkmcnt(0)
	global_store_dwordx4 v[12:13], v[6:9], off offset:3104
	ds_read_b128 v[2:5], v58 offset:9600
	ds_read_b128 v[6:9], v58 offset:12000
	v_add_co_u32_e32 v12, vcc, 0x2000, v10
	v_addc_co_u32_e32 v13, vcc, 0, v11, vcc
	s_waitcnt lgkmcnt(1)
	global_store_dwordx4 v[12:13], v[2:5], off offset:1408
	;; [unrolled: 8-line block ×3, first 2 shown]
	ds_read_b128 v[2:5], v58 offset:19200
	v_add_co_u32_e32 v12, vcc, 0x4000, v10
	v_addc_co_u32_e32 v13, vcc, 0, v11, vcc
	s_waitcnt lgkmcnt(1)
	global_store_dwordx4 v[12:13], v[6:9], off offset:416
	ds_read_b128 v[6:9], v58 offset:21600
	s_waitcnt lgkmcnt(1)
	global_store_dwordx4 v[12:13], v[2:5], off offset:2816
	s_movk_i32 s0, 0x95
	v_add_co_u32_e32 v2, vcc, 0x5000, v10
	v_addc_co_u32_e32 v3, vcc, 0, v11, vcc
	v_cmp_eq_u32_e32 vcc, s0, v48
	s_waitcnt lgkmcnt(0)
	global_store_dwordx4 v[2:3], v[6:9], off offset:1120
	s_and_b64 exec, exec, vcc
	s_cbranch_execz .LBB0_24
; %bb.23:
	v_mov_b32_e32 v2, 0
	ds_read_b128 v[2:5], v2 offset:24000
	v_add_co_u32_e32 v6, vcc, 0x5000, v1
	v_addc_co_u32_e32 v7, vcc, 0, v0, vcc
	s_waitcnt lgkmcnt(0)
	global_store_dwordx4 v[6:7], v[2:5], off offset:3520
.LBB0_24:
	s_endpgm
	.section	.rodata,"a",@progbits
	.p2align	6, 0x0
	.amdhsa_kernel fft_rtc_back_len1500_factors_5_10_10_3_wgs_150_tpt_150_halfLds_dp_ip_CI_unitstride_sbrr_R2C_dirReg
		.amdhsa_group_segment_fixed_size 0
		.amdhsa_private_segment_fixed_size 0
		.amdhsa_kernarg_size 88
		.amdhsa_user_sgpr_count 6
		.amdhsa_user_sgpr_private_segment_buffer 1
		.amdhsa_user_sgpr_dispatch_ptr 0
		.amdhsa_user_sgpr_queue_ptr 0
		.amdhsa_user_sgpr_kernarg_segment_ptr 1
		.amdhsa_user_sgpr_dispatch_id 0
		.amdhsa_user_sgpr_flat_scratch_init 0
		.amdhsa_user_sgpr_private_segment_size 0
		.amdhsa_uses_dynamic_stack 0
		.amdhsa_system_sgpr_private_segment_wavefront_offset 0
		.amdhsa_system_sgpr_workgroup_id_x 1
		.amdhsa_system_sgpr_workgroup_id_y 0
		.amdhsa_system_sgpr_workgroup_id_z 0
		.amdhsa_system_sgpr_workgroup_info 0
		.amdhsa_system_vgpr_workitem_id 0
		.amdhsa_next_free_vgpr 83
		.amdhsa_next_free_sgpr 22
		.amdhsa_reserve_vcc 1
		.amdhsa_reserve_flat_scratch 0
		.amdhsa_float_round_mode_32 0
		.amdhsa_float_round_mode_16_64 0
		.amdhsa_float_denorm_mode_32 3
		.amdhsa_float_denorm_mode_16_64 3
		.amdhsa_dx10_clamp 1
		.amdhsa_ieee_mode 1
		.amdhsa_fp16_overflow 0
		.amdhsa_exception_fp_ieee_invalid_op 0
		.amdhsa_exception_fp_denorm_src 0
		.amdhsa_exception_fp_ieee_div_zero 0
		.amdhsa_exception_fp_ieee_overflow 0
		.amdhsa_exception_fp_ieee_underflow 0
		.amdhsa_exception_fp_ieee_inexact 0
		.amdhsa_exception_int_div_zero 0
	.end_amdhsa_kernel
	.text
.Lfunc_end0:
	.size	fft_rtc_back_len1500_factors_5_10_10_3_wgs_150_tpt_150_halfLds_dp_ip_CI_unitstride_sbrr_R2C_dirReg, .Lfunc_end0-fft_rtc_back_len1500_factors_5_10_10_3_wgs_150_tpt_150_halfLds_dp_ip_CI_unitstride_sbrr_R2C_dirReg
                                        ; -- End function
	.section	.AMDGPU.csdata,"",@progbits
; Kernel info:
; codeLenInByte = 9212
; NumSgprs: 26
; NumVgprs: 83
; ScratchSize: 0
; MemoryBound: 0
; FloatMode: 240
; IeeeMode: 1
; LDSByteSize: 0 bytes/workgroup (compile time only)
; SGPRBlocks: 3
; VGPRBlocks: 20
; NumSGPRsForWavesPerEU: 26
; NumVGPRsForWavesPerEU: 83
; Occupancy: 3
; WaveLimiterHint : 1
; COMPUTE_PGM_RSRC2:SCRATCH_EN: 0
; COMPUTE_PGM_RSRC2:USER_SGPR: 6
; COMPUTE_PGM_RSRC2:TRAP_HANDLER: 0
; COMPUTE_PGM_RSRC2:TGID_X_EN: 1
; COMPUTE_PGM_RSRC2:TGID_Y_EN: 0
; COMPUTE_PGM_RSRC2:TGID_Z_EN: 0
; COMPUTE_PGM_RSRC2:TIDIG_COMP_CNT: 0
	.type	__hip_cuid_17ddbd0e849aede2,@object ; @__hip_cuid_17ddbd0e849aede2
	.section	.bss,"aw",@nobits
	.globl	__hip_cuid_17ddbd0e849aede2
__hip_cuid_17ddbd0e849aede2:
	.byte	0                               ; 0x0
	.size	__hip_cuid_17ddbd0e849aede2, 1

	.ident	"AMD clang version 19.0.0git (https://github.com/RadeonOpenCompute/llvm-project roc-6.4.0 25133 c7fe45cf4b819c5991fe208aaa96edf142730f1d)"
	.section	".note.GNU-stack","",@progbits
	.addrsig
	.addrsig_sym __hip_cuid_17ddbd0e849aede2
	.amdgpu_metadata
---
amdhsa.kernels:
  - .args:
      - .actual_access:  read_only
        .address_space:  global
        .offset:         0
        .size:           8
        .value_kind:     global_buffer
      - .offset:         8
        .size:           8
        .value_kind:     by_value
      - .actual_access:  read_only
        .address_space:  global
        .offset:         16
        .size:           8
        .value_kind:     global_buffer
      - .actual_access:  read_only
        .address_space:  global
        .offset:         24
        .size:           8
        .value_kind:     global_buffer
      - .offset:         32
        .size:           8
        .value_kind:     by_value
      - .actual_access:  read_only
        .address_space:  global
        .offset:         40
        .size:           8
        .value_kind:     global_buffer
      - .actual_access:  read_only
        .address_space:  global
        .offset:         48
        .size:           8
        .value_kind:     global_buffer
      - .offset:         56
        .size:           4
        .value_kind:     by_value
      - .actual_access:  read_only
        .address_space:  global
        .offset:         64
        .size:           8
        .value_kind:     global_buffer
      - .actual_access:  read_only
        .address_space:  global
        .offset:         72
        .size:           8
        .value_kind:     global_buffer
      - .address_space:  global
        .offset:         80
        .size:           8
        .value_kind:     global_buffer
    .group_segment_fixed_size: 0
    .kernarg_segment_align: 8
    .kernarg_segment_size: 88
    .language:       OpenCL C
    .language_version:
      - 2
      - 0
    .max_flat_workgroup_size: 150
    .name:           fft_rtc_back_len1500_factors_5_10_10_3_wgs_150_tpt_150_halfLds_dp_ip_CI_unitstride_sbrr_R2C_dirReg
    .private_segment_fixed_size: 0
    .sgpr_count:     26
    .sgpr_spill_count: 0
    .symbol:         fft_rtc_back_len1500_factors_5_10_10_3_wgs_150_tpt_150_halfLds_dp_ip_CI_unitstride_sbrr_R2C_dirReg.kd
    .uniform_work_group_size: 1
    .uses_dynamic_stack: false
    .vgpr_count:     83
    .vgpr_spill_count: 0
    .wavefront_size: 64
amdhsa.target:   amdgcn-amd-amdhsa--gfx906
amdhsa.version:
  - 1
  - 2
...

	.end_amdgpu_metadata
